;; amdgpu-corpus repo=ROCm/rocFFT kind=compiled arch=gfx1030 opt=O3
	.text
	.amdgcn_target "amdgcn-amd-amdhsa--gfx1030"
	.amdhsa_code_object_version 6
	.protected	bluestein_single_back_len1232_dim1_sp_op_CI_CI ; -- Begin function bluestein_single_back_len1232_dim1_sp_op_CI_CI
	.globl	bluestein_single_back_len1232_dim1_sp_op_CI_CI
	.p2align	8
	.type	bluestein_single_back_len1232_dim1_sp_op_CI_CI,@function
bluestein_single_back_len1232_dim1_sp_op_CI_CI: ; @bluestein_single_back_len1232_dim1_sp_op_CI_CI
; %bb.0:
	s_load_dwordx4 s[8:11], s[4:5], 0x28
	v_mul_u32_u24_e32 v1, 0x175, v0
	v_mov_b32_e32 v57, 0
	s_mov_b32 s0, exec_lo
	v_lshrrev_b32_e32 v1, 16, v1
	v_add_nc_u32_e32 v56, s6, v1
	s_waitcnt lgkmcnt(0)
	v_cmpx_gt_u64_e64 s[8:9], v[56:57]
	s_cbranch_execz .LBB0_47
; %bb.1:
	s_clause 0x1
	s_load_dwordx4 s[0:3], s[4:5], 0x18
	s_load_dwordx2 s[6:7], s[4:5], 0x0
	v_mul_lo_u16 v1, 0xb0, v1
	v_sub_nc_u16 v19, v0, v1
	v_and_b32_e32 v80, 0xffff, v19
	v_lshlrev_b32_e32 v79, 3, v80
	s_waitcnt lgkmcnt(0)
	s_load_dwordx4 s[12:15], s[0:1], 0x0
	s_clause 0x1
	global_load_dwordx2 v[61:62], v79, s[6:7]
	global_load_dwordx2 v[54:55], v79, s[6:7] offset:1408
	v_add_co_u32 v42, s0, s6, v79
	v_add_co_ci_u32_e64 v43, null, s7, 0, s0
	v_add_co_u32 v52, vcc_lo, 0x1000, v42
	v_add_co_ci_u32_e32 v53, vcc_lo, 0, v43, vcc_lo
	v_add_co_u32 v4, vcc_lo, 0x1800, v42
	v_add_co_ci_u32_e32 v5, vcc_lo, 0, v43, vcc_lo
	s_clause 0x1
	global_load_dwordx2 v[59:60], v[52:53], off offset:832
	global_load_dwordx2 v[57:58], v[4:5], off offset:192
	s_waitcnt lgkmcnt(0)
	v_mad_u64_u32 v[0:1], null, s14, v56, 0
	v_mad_u64_u32 v[2:3], null, s12, v80, 0
	s_mul_i32 s1, s13, 0x268
	s_mul_hi_u32 s7, s12, 0x268
	s_mul_i32 s0, s12, 0x268
	s_mul_hi_u32 s9, s12, 0xfffffe48
	s_add_i32 s1, s7, s1
	s_mul_i32 s8, s13, 0xfffffe48
	v_mad_u64_u32 v[6:7], null, s15, v56, v[1:2]
	v_mad_u64_u32 v[9:10], null, s13, v80, v[3:4]
	v_add_co_u32 v7, vcc_lo, 0x800, v42
	v_add_co_ci_u32_e32 v8, vcc_lo, 0, v43, vcc_lo
	v_mov_b32_e32 v1, v6
	s_mul_i32 s6, s12, 0xfffffe48
	v_mov_b32_e32 v3, v9
	s_sub_i32 s7, s9, s12
	s_lshl_b64 s[12:13], s[0:1], 3
	v_lshlrev_b64 v[0:1], 3, v[0:1]
	s_add_i32 s7, s7, s8
	v_lshlrev_b64 v[2:3], 3, v[2:3]
	s_lshl_b64 s[0:1], s[6:7], 3
	v_add_co_u32 v0, vcc_lo, s10, v0
	v_add_co_ci_u32_e32 v1, vcc_lo, s11, v1, vcc_lo
	v_add_co_u32 v0, vcc_lo, v0, v2
	v_add_co_ci_u32_e32 v1, vcc_lo, v1, v3, vcc_lo
	;; [unrolled: 2-line block ×3, first 2 shown]
	global_load_dwordx2 v[11:12], v[0:1], off
	v_add_co_u32 v9, vcc_lo, v2, s0
	v_add_co_ci_u32_e32 v10, vcc_lo, s1, v3, vcc_lo
	v_add_co_u32 v0, vcc_lo, v9, s12
	v_add_co_ci_u32_e32 v1, vcc_lo, s13, v10, vcc_lo
	s_clause 0x1
	global_load_dwordx2 v[2:3], v[2:3], off
	global_load_dwordx2 v[9:10], v[9:10], off
	v_add_co_u32 v13, vcc_lo, v0, s0
	v_add_co_ci_u32_e32 v14, vcc_lo, s1, v1, vcc_lo
	global_load_dwordx2 v[15:16], v[0:1], off
	v_add_co_u32 v0, vcc_lo, v13, s12
	v_add_co_ci_u32_e32 v1, vcc_lo, s13, v14, vcc_lo
	global_load_dwordx2 v[63:64], v[7:8], off offset:768
	global_load_dwordx2 v[6:7], v[13:14], off
	global_load_dwordx2 v[65:66], v[4:5], off offset:1600
	global_load_dwordx2 v[4:5], v[0:1], off
	s_load_dwordx2 s[6:7], s[4:5], 0x38
	s_load_dwordx4 s[8:11], s[2:3], 0x0
	v_cmp_gt_u16_e32 vcc_lo, 0x58, v19
	s_waitcnt vmcnt(7)
	v_mul_f32_e32 v13, v12, v62
	v_mul_f32_e32 v8, v11, v62
	v_fmac_f32_e32 v13, v11, v61
	v_fma_f32 v14, v12, v61, -v8
	s_waitcnt vmcnt(6)
	v_mul_f32_e32 v11, v3, v60
	v_mul_f32_e32 v12, v2, v60
	s_waitcnt vmcnt(5)
	v_mul_f32_e32 v8, v10, v55
	v_mul_f32_e32 v17, v9, v55
	v_fmac_f32_e32 v11, v2, v59
	s_waitcnt vmcnt(4)
	v_mul_f32_e32 v2, v16, v58
	v_fma_f32 v12, v3, v59, -v12
	v_fmac_f32_e32 v8, v9, v54
	v_fma_f32 v9, v10, v54, -v17
	v_mul_f32_e32 v3, v15, v58
	v_fmac_f32_e32 v2, v15, v57
	s_waitcnt vmcnt(2)
	v_mul_f32_e32 v15, v7, v64
	v_mul_f32_e32 v10, v6, v64
	s_waitcnt vmcnt(0)
	v_mul_f32_e32 v17, v5, v66
	v_mul_f32_e32 v18, v4, v66
	v_fma_f32 v3, v16, v57, -v3
	v_fmac_f32_e32 v15, v6, v63
	v_fma_f32 v16, v7, v63, -v10
	v_fmac_f32_e32 v17, v4, v65
	v_fma_f32 v18, v5, v65, -v18
	v_add_nc_u32_e32 v4, 0x1800, v79
	ds_write_b64 v79, v[11:12] offset:4928
	ds_write2_b64 v79, v[13:14], v[8:9] offset1:176
	ds_write_b64 v79, v[15:16] offset:2816
	ds_write2_b64 v4, v[2:3], v[17:18] offset0:24 offset1:200
	s_and_saveexec_b32 s2, vcc_lo
	s_cbranch_execz .LBB0_3
; %bb.2:
	v_add_co_u32 v0, s0, v0, s0
	v_add_co_ci_u32_e64 v1, s0, s1, v1, s0
	v_add_co_u32 v2, s0, 0x2000, v42
	v_add_co_ci_u32_e64 v3, s0, 0, v43, s0
	;; [unrolled: 2-line block ×3, first 2 shown]
	global_load_dwordx2 v[0:1], v[0:1], off
	s_clause 0x1
	global_load_dwordx2 v[6:7], v[52:53], off offset:128
	global_load_dwordx2 v[2:3], v[2:3], off offset:960
	global_load_dwordx2 v[4:5], v[4:5], off
	s_waitcnt vmcnt(2)
	v_mul_f32_e32 v8, v1, v7
	v_mul_f32_e32 v7, v0, v7
	s_waitcnt vmcnt(0)
	v_mul_f32_e32 v10, v5, v3
	v_mul_f32_e32 v3, v4, v3
	v_fmac_f32_e32 v8, v0, v6
	v_fma_f32 v9, v1, v6, -v7
	v_fmac_f32_e32 v10, v4, v2
	v_fma_f32 v11, v5, v2, -v3
	ds_write_b64 v79, v[8:9] offset:4224
	ds_write_b64 v79, v[10:11] offset:9152
.LBB0_3:
	s_or_b32 exec_lo, exec_lo, s2
	v_add_nc_u32_e32 v0, 0x1200, v79
	s_waitcnt lgkmcnt(0)
	s_barrier
	buffer_gl0_inv
	ds_read2_b64 v[1:4], v79 offset1:176
	ds_read2_b64 v[5:8], v0 offset0:40 offset1:216
	ds_read_b64 v[9:10], v79 offset:2816
	ds_read_b64 v[13:14], v79 offset:7744
                                        ; implicit-def: $vgpr15
                                        ; implicit-def: $vgpr11
	s_and_saveexec_b32 s0, vcc_lo
	s_cbranch_execz .LBB0_5
; %bb.4:
	ds_read_b64 v[11:12], v79 offset:4224
	ds_read_b64 v[15:16], v79 offset:9152
.LBB0_5:
	s_or_b32 exec_lo, exec_lo, s0
	s_load_dwordx2 s[2:3], s[4:5], 0x8
	s_waitcnt lgkmcnt(0)
	v_sub_f32_e32 v22, v2, v6
	v_sub_f32_e32 v7, v3, v7
	v_lshlrev_b32_e32 v17, 1, v80
	v_sub_f32_e32 v21, v1, v5
	v_add_co_u32 v18, null, 0x210, v80
	v_fma_f32 v20, v2, 2.0, -v22
	v_fma_f32 v5, v3, 2.0, -v7
	v_sub_f32_e32 v2, v11, v15
	v_sub_f32_e32 v3, v12, v16
	;; [unrolled: 1-line block ×5, first 2 shown]
	v_fma_f32 v19, v1, 2.0, -v21
	v_fma_f32 v0, v11, 2.0, -v2
	v_fma_f32 v1, v12, 2.0, -v3
	v_lshlrev_b32_e32 v86, 4, v80
	v_add_nc_u32_e32 v94, 0x160, v17
	v_add_nc_u32_e32 v95, 0x2c0, v17
	v_lshlrev_b32_e32 v47, 4, v18
	v_fma_f32 v6, v4, 2.0, -v8
	v_lshlrev_b32_e32 v4, 3, v17
	v_fma_f32 v23, v9, 2.0, -v25
	v_fma_f32 v24, v10, 2.0, -v26
	s_barrier
	buffer_gl0_inv
	ds_write_b128 v86, v[19:22]
	ds_write_b128 v4, v[5:8] offset:2816
	ds_write_b128 v4, v[23:26] offset:5632
	s_and_saveexec_b32 s0, vcc_lo
	s_cbranch_execz .LBB0_7
; %bb.6:
	ds_write_b128 v47, v[0:3]
.LBB0_7:
	s_or_b32 exec_lo, exec_lo, s0
	v_add_nc_u32_e32 v8, 0x1200, v79
	s_waitcnt lgkmcnt(0)
	s_barrier
	buffer_gl0_inv
	ds_read2_b64 v[4:7], v79 offset1:176
	ds_read2_b64 v[8:11], v8 offset0:40 offset1:216
	ds_read_b64 v[12:13], v79 offset:2816
	ds_read_b64 v[14:15], v79 offset:7744
	s_and_saveexec_b32 s0, vcc_lo
	s_cbranch_execz .LBB0_9
; %bb.8:
	ds_read_b64 v[0:1], v79 offset:4224
	ds_read_b64 v[2:3], v79 offset:9152
.LBB0_9:
	s_or_b32 exec_lo, exec_lo, s0
	v_and_b32_e32 v83, 1, v80
	v_lshlrev_b32_e32 v82, 1, v18
	v_lshlrev_b32_e32 v16, 3, v83
	v_and_or_b32 v18, 0x3fc, v94, v83
	v_and_or_b32 v19, 0x7fc, v95, v83
	global_load_dwordx2 v[48:49], v16, s[2:3]
	v_and_or_b32 v16, 0x1fc, v17, v83
	v_lshlrev_b32_e32 v89, 3, v18
	v_lshlrev_b32_e32 v88, 3, v19
	s_waitcnt vmcnt(0) lgkmcnt(0)
	s_barrier
	v_lshlrev_b32_e32 v90, 3, v16
	buffer_gl0_inv
	v_mul_f32_e32 v16, v9, v49
	v_mul_f32_e32 v18, v8, v49
	;; [unrolled: 1-line block ×8, first 2 shown]
	v_fma_f32 v8, v8, v48, -v16
	v_fmac_f32_e32 v18, v9, v48
	v_fma_f32 v9, v10, v48, -v19
	v_fmac_f32_e32 v20, v11, v48
	v_fma_f32 v10, v14, v48, -v21
	v_fma_f32 v11, v2, v48, -v23
	v_fmac_f32_e32 v24, v3, v48
	v_fmac_f32_e32 v22, v15, v48
	v_sub_f32_e32 v2, v4, v8
	v_sub_f32_e32 v3, v5, v18
	;; [unrolled: 1-line block ×8, first 2 shown]
	v_fma_f32 v4, v4, 2.0, -v2
	v_fma_f32 v5, v5, 2.0, -v3
	;; [unrolled: 1-line block ×8, first 2 shown]
	ds_write2_b64 v90, v[4:5], v[2:3] offset1:2
	ds_write2_b64 v89, v[6:7], v[14:15] offset1:2
	;; [unrolled: 1-line block ×3, first 2 shown]
	s_and_saveexec_b32 s0, vcc_lo
	s_cbranch_execz .LBB0_11
; %bb.10:
	v_and_or_b32 v0, 0x5fc, v82, v83
	v_lshlrev_b32_e32 v0, 3, v0
	ds_write2_b64 v0, v[8:9], v[10:11] offset1:2
.LBB0_11:
	s_or_b32 exec_lo, exec_lo, s0
	v_add_nc_u32_e32 v4, 0x1200, v79
	s_waitcnt lgkmcnt(0)
	s_barrier
	buffer_gl0_inv
	ds_read2_b64 v[0:3], v79 offset1:176
	ds_read2_b64 v[4:7], v4 offset0:40 offset1:216
	ds_read_b64 v[12:13], v79 offset:2816
	ds_read_b64 v[14:15], v79 offset:7744
	s_and_saveexec_b32 s0, vcc_lo
	s_cbranch_execz .LBB0_13
; %bb.12:
	ds_read_b64 v[8:9], v79 offset:4224
	ds_read_b64 v[10:11], v79 offset:9152
.LBB0_13:
	s_or_b32 exec_lo, exec_lo, s0
	v_and_b32_e32 v85, 3, v80
	v_lshlrev_b32_e32 v16, 3, v85
	v_and_or_b32 v18, 0x3f8, v94, v85
	v_and_or_b32 v19, 0x7f8, v95, v85
	global_load_dwordx2 v[50:51], v16, s[2:3] offset:16
	v_and_or_b32 v16, 0x1f8, v17, v85
	v_lshlrev_b32_e32 v92, 3, v18
	v_lshlrev_b32_e32 v91, 3, v19
	s_waitcnt vmcnt(0) lgkmcnt(0)
	s_barrier
	v_lshlrev_b32_e32 v93, 3, v16
	buffer_gl0_inv
	v_mul_f32_e32 v16, v5, v51
	v_mul_f32_e32 v18, v4, v51
	;; [unrolled: 1-line block ×8, first 2 shown]
	v_fma_f32 v4, v4, v50, -v16
	v_fmac_f32_e32 v18, v5, v50
	v_fma_f32 v10, v10, v50, -v23
	v_fmac_f32_e32 v24, v11, v50
	;; [unrolled: 2-line block ×4, first 2 shown]
	v_sub_f32_e32 v4, v0, v4
	v_sub_f32_e32 v5, v1, v18
	;; [unrolled: 1-line block ×8, first 2 shown]
	v_fma_f32 v0, v0, 2.0, -v4
	v_fma_f32 v1, v1, 2.0, -v5
	;; [unrolled: 1-line block ×8, first 2 shown]
	ds_write2_b64 v93, v[0:1], v[4:5] offset1:4
	ds_write2_b64 v92, v[2:3], v[6:7] offset1:4
	;; [unrolled: 1-line block ×3, first 2 shown]
	s_and_saveexec_b32 s0, vcc_lo
	s_cbranch_execz .LBB0_15
; %bb.14:
	v_and_or_b32 v0, 0x5f8, v82, v85
	v_lshlrev_b32_e32 v0, 3, v0
	ds_write2_b64 v0, v[8:9], v[10:11] offset1:4
.LBB0_15:
	s_or_b32 exec_lo, exec_lo, s0
	v_add_nc_u32_e32 v4, 0x1200, v79
	s_waitcnt lgkmcnt(0)
	s_barrier
	buffer_gl0_inv
	ds_read2_b64 v[0:3], v79 offset1:176
	ds_read2_b64 v[4:7], v4 offset0:40 offset1:216
	ds_read_b64 v[12:13], v79 offset:2816
	ds_read_b64 v[14:15], v79 offset:7744
	s_and_saveexec_b32 s0, vcc_lo
	s_cbranch_execz .LBB0_17
; %bb.16:
	ds_read_b64 v[8:9], v79 offset:4224
	ds_read_b64 v[10:11], v79 offset:9152
.LBB0_17:
	s_or_b32 exec_lo, exec_lo, s0
	v_and_b32_e32 v87, 7, v80
	v_lshlrev_b32_e32 v16, 3, v87
	v_and_or_b32 v18, 0x7f0, v95, v87
	global_load_dwordx2 v[69:70], v16, s[2:3] offset:48
	v_and_or_b32 v16, 0x1f0, v17, v87
	v_and_or_b32 v17, 0x3f0, v94, v87
	v_lshlrev_b32_e32 v96, 3, v18
	s_waitcnt vmcnt(0) lgkmcnt(0)
	s_barrier
	v_lshlrev_b32_e32 v98, 3, v16
	v_lshlrev_b32_e32 v97, 3, v17
	buffer_gl0_inv
	v_mul_f32_e32 v16, v5, v70
	v_mul_f32_e32 v17, v4, v70
	;; [unrolled: 1-line block ×8, first 2 shown]
	v_fma_f32 v4, v4, v69, -v16
	v_fmac_f32_e32 v17, v5, v69
	v_fma_f32 v5, v6, v69, -v18
	v_fmac_f32_e32 v19, v7, v69
	;; [unrolled: 2-line block ×4, first 2 shown]
	v_sub_f32_e32 v22, v0, v4
	v_sub_f32_e32 v23, v1, v17
	;; [unrolled: 1-line block ×8, first 2 shown]
	v_fma_f32 v20, v0, 2.0, -v22
	v_fma_f32 v21, v1, 2.0, -v23
	;; [unrolled: 1-line block ×8, first 2 shown]
	ds_write2_b64 v98, v[20:21], v[22:23] offset1:8
	ds_write2_b64 v97, v[32:33], v[34:35] offset1:8
	;; [unrolled: 1-line block ×3, first 2 shown]
	s_and_saveexec_b32 s0, vcc_lo
	s_cbranch_execz .LBB0_19
; %bb.18:
	v_and_or_b32 v0, 0x5f0, v82, v87
	v_lshlrev_b32_e32 v0, 3, v0
	ds_write2_b64 v0, v[24:25], v[26:27] offset1:8
.LBB0_19:
	s_or_b32 exec_lo, exec_lo, s0
	v_cmp_gt_u16_e64 s0, 0x70, v80
	s_waitcnt lgkmcnt(0)
	s_barrier
	buffer_gl0_inv
                                        ; implicit-def: $vgpr36
                                        ; implicit-def: $vgpr40
	s_and_saveexec_b32 s1, s0
	s_cbranch_execz .LBB0_21
; %bb.20:
	v_add_nc_u32_e32 v0, 0x400, v79
	v_add_nc_u32_e32 v1, 0xc00, v79
	;; [unrolled: 1-line block ×4, first 2 shown]
	ds_read2_b64 v[20:23], v79 offset1:112
	ds_read2_b64 v[32:35], v0 offset0:96 offset1:208
	ds_read2_b64 v[28:31], v1 offset0:64 offset1:176
	;; [unrolled: 1-line block ×4, first 2 shown]
	ds_read_b64 v[40:41], v79 offset:8960
.LBB0_21:
	s_or_b32 exec_lo, exec_lo, s1
	v_and_b32_e32 v81, 15, v80
	v_mad_u64_u32 v[16:17], null, 0x50, v81, s[2:3]
	s_clause 0x4
	global_load_dwordx4 v[12:15], v[16:17], off offset:112
	global_load_dwordx4 v[4:7], v[16:17], off offset:128
	;; [unrolled: 1-line block ×5, first 2 shown]
	s_waitcnt vmcnt(0) lgkmcnt(0)
	s_barrier
	buffer_gl0_inv
	v_mul_f32_e32 v45, v23, v13
	v_mul_f32_e32 v99, v22, v13
	;; [unrolled: 1-line block ×11, first 2 shown]
	v_fma_f32 v103, v22, v12, -v45
	v_fmac_f32_e32 v99, v23, v12
	v_fma_f32 v22, v40, v18, -v108
	v_fmac_f32_e32 v67, v41, v18
	v_mul_f32_e32 v71, v35, v5
	v_mul_f32_e32 v77, v34, v5
	;; [unrolled: 1-line block ×5, first 2 shown]
	v_fma_f32 v102, v32, v14, -v46
	v_fmac_f32_e32 v78, v33, v14
	v_fma_f32 v100, v28, v6, -v72
	v_fma_f32 v28, v24, v2, -v104
	;; [unrolled: 1-line block ×4, first 2 shown]
	v_fmac_f32_e32 v44, v39, v16
	v_sub_f32_e32 v106, v103, v22
	v_sub_f32_e32 v111, v99, v67
	v_mul_f32_e32 v105, v27, v9
	v_mul_f32_e32 v73, v26, v9
	v_fma_f32 v101, v34, v4, -v71
	v_fmac_f32_e32 v77, v35, v4
	v_fmac_f32_e32 v68, v37, v10
	v_add_f32_e32 v104, v103, v22
	v_add_f32_e32 v117, v99, v67
	v_sub_f32_e32 v110, v102, v23
	v_sub_f32_e32 v119, v78, v44
	v_mul_f32_e32 v38, 0xbf0a6770, v111
	v_mul_f32_e32 v41, 0xbf0a6770, v106
	;; [unrolled: 1-line block ×10, first 2 shown]
	v_fmac_f32_e32 v76, v29, v6
	v_fmac_f32_e32 v74, v25, v2
	v_fma_f32 v25, v26, v8, -v105
	v_fmac_f32_e32 v73, v27, v8
	v_add_f32_e32 v107, v102, v23
	v_add_f32_e32 v125, v78, v44
	v_sub_f32_e32 v112, v101, v24
	v_sub_f32_e32 v126, v77, v68
	v_mul_f32_e32 v36, 0xbf68dda4, v119
	v_mul_f32_e32 v40, 0xbf68dda4, v110
	;; [unrolled: 1-line block ×8, first 2 shown]
	v_fmamk_f32 v32, v104, 0x3f575c64, v38
	v_fma_f32 v33, 0x3f575c64, v117, -v41
	v_fmamk_f32 v155, v104, 0x3ed4b147, v114
	v_fma_f32 v157, 0x3ed4b147, v117, -v124
	;; [unrolled: 2-line block ×4, first 2 shown]
	v_fma_f32 v29, v30, v0, -v84
	v_fmac_f32_e32 v75, v31, v0
	v_add_f32_e32 v109, v101, v24
	v_add_f32_e32 v129, v77, v68
	v_sub_f32_e32 v118, v100, v25
	v_sub_f32_e32 v132, v76, v73
	v_mul_f32_e32 v31, 0xbf7d64f0, v126
	v_mul_f32_e32 v39, 0xbf7d64f0, v112
	v_mul_f32_e32 v115, 0x3e903f40, v126
	v_mul_f32_e32 v123, 0x3e903f40, v112
	v_mul_f32_e32 v131, 0x3f68dda4, v126
	v_mul_f32_e32 v140, 0x3f68dda4, v112
	v_mul_f32_e32 v146, 0xbf0a6770, v126
	v_mul_f32_e32 v152, 0xbf0a6770, v112
	v_fmamk_f32 v34, v107, 0x3ed4b147, v36
	v_fma_f32 v35, 0x3ed4b147, v125, -v40
	v_fmamk_f32 v156, v107, 0xbf27a4f4, v113
	v_fma_f32 v158, 0xbf27a4f4, v125, -v122
	v_fmamk_f32 v166, v107, 0xbf75a155, v134
	v_fma_f32 v171, 0xbf75a155, v125, -v141
	v_fmamk_f32 v176, v107, 0xbe11bafb, v147
	v_fma_f32 v178, 0xbe11bafb, v125, -v151
	v_add_f32_e32 v32, v20, v32
	v_add_f32_e32 v33, v21, v33
	;; [unrolled: 1-line block ×10, first 2 shown]
	v_sub_f32_e32 v138, v75, v74
	v_sub_f32_e32 v133, v29, v28
	v_mul_f32_e32 v27, 0xbf4178ce, v132
	v_mul_f32_e32 v37, 0xbf4178ce, v118
	;; [unrolled: 1-line block ×8, first 2 shown]
	v_fmamk_f32 v45, v109, 0xbe11bafb, v31
	v_fma_f32 v46, 0xbe11bafb, v129, -v39
	v_fmamk_f32 v159, v109, 0xbf75a155, v115
	v_fma_f32 v160, 0xbf75a155, v129, -v123
	;; [unrolled: 2-line block ×4, first 2 shown]
	v_add_f32_e32 v32, v34, v32
	v_add_f32_e32 v33, v35, v33
	;; [unrolled: 1-line block ×10, first 2 shown]
	v_mul_f32_e32 v26, 0xbe903f40, v138
	v_mul_f32_e32 v30, 0xbe903f40, v133
	;; [unrolled: 1-line block ×8, first 2 shown]
	v_fmamk_f32 v71, v116, 0xbf27a4f4, v27
	v_fma_f32 v72, 0xbf27a4f4, v135, -v37
	v_fmamk_f32 v161, v116, 0xbe11bafb, v108
	v_fma_f32 v162, 0xbe11bafb, v135, -v121
	;; [unrolled: 2-line block ×4, first 2 shown]
	v_add_f32_e32 v32, v45, v32
	v_add_f32_e32 v33, v46, v33
	;; [unrolled: 1-line block ×8, first 2 shown]
	v_fmamk_f32 v84, v127, 0xbf75a155, v26
	v_fma_f32 v154, 0xbf75a155, v145, -v30
	v_fmamk_f32 v163, v127, 0x3f575c64, v105
	v_fma_f32 v164, 0x3f575c64, v145, -v120
	;; [unrolled: 2-line block ×4, first 2 shown]
	v_add_f32_e32 v32, v71, v32
	v_add_f32_e32 v33, v72, v33
	;; [unrolled: 1-line block ×16, first 2 shown]
	v_lshrrev_b32_e32 v84, 4, v80
	s_and_saveexec_b32 s1, s0
	s_cbranch_execz .LBB0_23
; %bb.22:
	v_mul_f32_e32 v155, 0x3f575c64, v117
	v_mul_f32_e32 v157, 0x3ed4b147, v117
	;; [unrolled: 1-line block ×9, first 2 shown]
	v_fmamk_f32 v191, v106, 0x3e903f40, v117
	v_mul_f32_e32 v125, 0x3f575c64, v125
	v_mul_f32_e32 v111, 0xbe903f40, v111
	v_mul_f32_e32 v154, 0x3f575c64, v104
	v_mul_f32_e32 v156, 0x3ed4b147, v104
	v_mul_f32_e32 v158, 0xbe11bafb, v104
	v_mul_f32_e32 v160, 0xbf27a4f4, v104
	v_mul_f32_e32 v171, 0xbe11bafb, v129
	v_mul_f32_e32 v173, 0xbf75a155, v129
	v_mul_f32_e32 v175, 0x3ed4b147, v129
	v_mul_f32_e32 v177, 0x3f575c64, v129
	v_add_f32_e32 v191, v21, v191
	v_fmamk_f32 v194, v110, 0xbf0a6770, v125
	v_mul_f32_e32 v129, 0xbf27a4f4, v129
	v_fmamk_f32 v196, v104, 0xbf75a155, v111
	v_mul_f32_e32 v119, 0x3f0a6770, v119
	v_fma_f32 v104, 0xbf75a155, v104, -v111
	v_mul_f32_e32 v162, 0x3ed4b147, v107
	v_mul_f32_e32 v164, 0xbf27a4f4, v107
	;; [unrolled: 1-line block ×8, first 2 shown]
	v_add_f32_e32 v191, v194, v191
	v_fmamk_f32 v194, v112, 0x3f4178ce, v129
	v_mul_f32_e32 v135, 0x3ed4b147, v135
	v_add_f32_e32 v196, v20, v196
	v_fmamk_f32 v197, v107, 0x3f575c64, v119
	v_mul_f32_e32 v126, 0xbf4178ce, v126
	v_fmac_f32_e32 v129, 0xbf4178ce, v112
	v_add_f32_e32 v104, v20, v104
	v_fma_f32 v107, 0x3f575c64, v107, -v119
	v_add_f32_e32 v112, v153, v161
	v_mul_f32_e32 v170, 0xbe11bafb, v109
	v_mul_f32_e32 v172, 0xbf75a155, v109
	;; [unrolled: 1-line block ×4, first 2 shown]
	v_add_f32_e32 v191, v194, v191
	v_fmamk_f32 v194, v118, 0xbf68dda4, v135
	v_add_f32_e32 v196, v197, v196
	v_fmamk_f32 v197, v109, 0xbf27a4f4, v126
	v_mul_f32_e32 v132, 0x3f68dda4, v132
	v_fmac_f32_e32 v117, 0xbe903f40, v106
	v_add_f32_e32 v104, v107, v104
	v_fma_f32 v107, 0xbf27a4f4, v109, -v126
	v_add_f32_e32 v109, v21, v112
	v_add_f32_e32 v112, v151, v169
	v_mul_f32_e32 v178, 0xbf27a4f4, v116
	v_mul_f32_e32 v180, 0xbe11bafb, v116
	;; [unrolled: 1-line block ×4, first 2 shown]
	v_add_f32_e32 v106, v194, v191
	v_add_f32_e32 v194, v197, v196
	v_fmamk_f32 v196, v116, 0x3ed4b147, v132
	v_add_f32_e32 v117, v21, v117
	v_fmac_f32_e32 v125, 0x3f0a6770, v110
	v_mul_f32_e32 v111, 0xbf7d64f0, v138
	v_add_f32_e32 v104, v107, v104
	v_fma_f32 v107, 0x3ed4b147, v116, -v132
	v_add_f32_e32 v109, v112, v109
	v_add_f32_e32 v112, v152, v177
	v_sub_f32_e32 v116, v160, v148
	v_mul_f32_e32 v195, 0x3ed4b147, v145
	v_add_f32_e32 v110, v125, v117
	v_fmamk_f32 v117, v127, 0xbe11bafb, v111
	v_fmac_f32_e32 v135, 0x3f68dda4, v118
	v_add_f32_e32 v104, v107, v104
	v_fma_f32 v107, 0xbe11bafb, v127, -v111
	v_add_f32_e32 v111, v112, v109
	v_add_f32_e32 v112, v150, v185
	v_add_f32_e32 v116, v20, v116
	v_sub_f32_e32 v118, v168, v147
	v_add_f32_e32 v109, v107, v104
	v_add_f32_e32 v104, v142, v159
	v_add_f32_e32 v107, v112, v111
	v_add_f32_e32 v111, v149, v195
	v_add_f32_e32 v112, v118, v116
	v_sub_f32_e32 v116, v176, v146
	v_add_f32_e32 v118, v21, v104
	v_add_f32_e32 v99, v21, v99
	v_add_f32_e32 v104, v111, v107
	v_add_f32_e32 v103, v20, v103
	v_add_f32_e32 v111, v116, v112
	v_sub_f32_e32 v112, v184, v144
	v_add_f32_e32 v41, v41, v155
	v_add_f32_e32 v78, v99, v78
	v_add_f32_e32 v99, v103, v102
	v_add_f32_e32 v119, v141, v167
	;; [unrolled: 1-line block ×4, first 2 shown]
	v_sub_f32_e32 v107, v158, v136
	v_add_f32_e32 v40, v40, v163
	v_add_f32_e32 v116, v119, v118
	;; [unrolled: 1-line block ×8, first 2 shown]
	v_sub_f32_e32 v119, v166, v134
	v_sub_f32_e32 v114, v156, v114
	;; [unrolled: 1-line block ×3, first 2 shown]
	v_add_f32_e32 v21, v40, v21
	v_add_f32_e32 v40, v41, v76
	;; [unrolled: 1-line block ×6, first 2 shown]
	v_sub_f32_e32 v118, v174, v131
	v_add_f32_e32 v119, v122, v165
	v_add_f32_e32 v114, v20, v114
	;; [unrolled: 1-line block ×3, first 2 shown]
	v_sub_f32_e32 v36, v162, v36
	v_add_f32_e32 v38, v40, v75
	v_add_f32_e32 v29, v41, v29
	v_mul_f32_e32 v190, 0xbf27a4f4, v127
	v_add_f32_e32 v112, v116, v112
	v_add_f32_e32 v107, v118, v107
	v_sub_f32_e32 v116, v182, v130
	v_add_f32_e32 v111, v119, v111
	v_add_f32_e32 v118, v123, v173
	;; [unrolled: 1-line block ×5, first 2 shown]
	v_mul_f32_e32 v189, 0x3f575c64, v145
	v_add_f32_e32 v107, v116, v107
	v_sub_f32_e32 v116, v190, v128
	v_add_f32_e32 v118, v118, v111
	v_add_f32_e32 v121, v121, v181
	v_sub_f32_e32 v113, v164, v113
	v_add_f32_e32 v39, v39, v171
	v_sub_f32_e32 v29, v170, v31
	v_add_f32_e32 v36, v36, v73
	v_add_f32_e32 v25, v28, v25
	;; [unrolled: 1-line block ×6, first 2 shown]
	v_sub_f32_e32 v115, v172, v115
	v_mul_f32_e32 v187, 0xbf75a155, v145
	v_mul_f32_e32 v192, 0xbf27a4f4, v145
	;; [unrolled: 1-line block ×4, first 2 shown]
	v_add_f32_e32 v21, v39, v21
	v_add_f32_e32 v37, v37, v179
	;; [unrolled: 1-line block ×3, first 2 shown]
	v_sub_f32_e32 v27, v178, v27
	v_add_f32_e32 v29, v36, v68
	v_add_f32_e32 v24, v25, v24
	v_mul_u32_u24_e32 v25, 0xb0, v84
	v_mul_f32_e32 v188, 0x3f575c64, v127
	v_add_f32_e32 v114, v116, v107
	v_add_f32_e32 v107, v115, v113
	v_sub_f32_e32 v102, v180, v108
	v_mul_f32_e32 v193, 0x3ed4b147, v127
	v_add_f32_e32 v110, v129, v110
	v_fmamk_f32 v191, v133, 0x3f7d64f0, v145
	v_add_f32_e32 v21, v37, v21
	v_add_f32_e32 v28, v30, v187
	;; [unrolled: 1-line block ×3, first 2 shown]
	v_sub_f32_e32 v26, v186, v26
	v_add_f32_e32 v27, v29, v44
	v_add_f32_e32 v24, v24, v23
	v_or_b32_e32 v25, v25, v81
	v_add_f32_e32 v119, v137, v192
	v_add_f32_e32 v78, v102, v107
	v_sub_f32_e32 v31, v188, v105
	v_add_f32_e32 v110, v135, v110
	v_fmac_f32_e32 v145, 0xbf7d64f0, v133
	v_sub_f32_e32 v122, v193, v143
	v_add_f32_e32 v106, v191, v106
	v_add_f32_e32 v191, v196, v194
	;; [unrolled: 1-line block ×6, first 2 shown]
	v_lshlrev_b32_e32 v24, 3, v25
	v_add_f32_e32 v112, v119, v112
	v_add_f32_e32 v113, v31, v78
	;; [unrolled: 1-line block ×5, first 2 shown]
	ds_write2_b64 v24, v[22:23], v[20:21] offset1:16
	ds_write2_b64 v24, v[113:114], v[111:112] offset0:32 offset1:48
	ds_write2_b64 v24, v[103:104], v[109:110] offset0:64 offset1:80
	;; [unrolled: 1-line block ×4, first 2 shown]
	ds_write_b64 v24, v[71:72] offset:1280
.LBB0_23:
	s_or_b32 exec_lo, exec_lo, s1
	v_mad_u64_u32 v[20:21], null, v80, 48, s[2:3]
	s_waitcnt lgkmcnt(0)
	s_barrier
	buffer_gl0_inv
	v_add_nc_u32_e32 v44, 0xa00, v79
	v_add_nc_u32_e32 v103, 0x1400, v79
	s_clause 0x2
	global_load_dwordx4 v[28:31], v[20:21], off offset:1392
	global_load_dwordx4 v[24:27], v[20:21], off offset:1408
	;; [unrolled: 1-line block ×3, first 2 shown]
	ds_read2_b64 v[36:39], v79 offset1:176
	ds_read2_b64 v[73:76], v44 offset0:32 offset1:208
	ds_read2_b64 v[99:102], v103 offset0:64 offset1:240
	ds_read_b64 v[40:41], v79 offset:8448
	s_waitcnt vmcnt(2) lgkmcnt(3)
	v_mul_f32_e32 v68, v38, v29
	s_waitcnt lgkmcnt(2)
	v_mul_f32_e32 v78, v73, v31
	s_waitcnt vmcnt(0) lgkmcnt(1)
	v_mul_f32_e32 v109, v101, v21
	s_waitcnt lgkmcnt(0)
	v_mul_f32_e32 v111, v40, v23
	v_mul_f32_e32 v67, v39, v29
	;; [unrolled: 1-line block ×9, first 2 shown]
	v_fmac_f32_e32 v68, v39, v28
	v_fmac_f32_e32 v78, v74, v30
	;; [unrolled: 1-line block ×4, first 2 shown]
	v_fma_f32 v38, v38, v28, -v67
	v_fma_f32 v39, v73, v30, -v77
	;; [unrolled: 1-line block ×5, first 2 shown]
	v_fmac_f32_e32 v105, v76, v24
	v_fma_f32 v73, v99, v26, -v106
	v_fmac_f32_e32 v107, v100, v26
	v_add_f32_e32 v75, v68, v111
	v_add_f32_e32 v76, v78, v109
	;; [unrolled: 1-line block ×3, first 2 shown]
	v_sub_f32_e32 v38, v38, v40
	v_sub_f32_e32 v40, v68, v111
	v_add_f32_e32 v68, v39, v41
	v_sub_f32_e32 v39, v39, v41
	v_sub_f32_e32 v41, v78, v109
	v_add_f32_e32 v77, v67, v73
	v_add_f32_e32 v78, v105, v107
	v_sub_f32_e32 v67, v73, v67
	v_sub_f32_e32 v73, v107, v105
	v_add_f32_e32 v100, v76, v75
	v_add_f32_e32 v99, v68, v74
	v_sub_f32_e32 v101, v68, v74
	v_sub_f32_e32 v102, v76, v75
	;; [unrolled: 1-line block ×6, first 2 shown]
	v_add_f32_e32 v104, v67, v39
	v_add_f32_e32 v105, v73, v41
	v_sub_f32_e32 v106, v67, v39
	v_sub_f32_e32 v107, v73, v41
	;; [unrolled: 1-line block ×3, first 2 shown]
	v_add_f32_e32 v78, v78, v100
	v_sub_f32_e32 v41, v41, v40
	v_add_f32_e32 v77, v77, v99
	v_sub_f32_e32 v67, v38, v67
	v_sub_f32_e32 v73, v40, v73
	v_add_f32_e32 v38, v104, v38
	v_add_f32_e32 v40, v105, v40
	v_mul_f32_e32 v74, 0x3f4a47b2, v74
	v_mul_f32_e32 v75, 0x3f4a47b2, v75
	;; [unrolled: 1-line block ×7, first 2 shown]
	v_add_f32_e32 v37, v37, v78
	v_mul_f32_e32 v107, 0x3f5ff5aa, v41
	v_add_f32_e32 v36, v36, v77
	v_fmamk_f32 v68, v68, 0x3d64c772, v74
	v_fmamk_f32 v76, v76, 0x3d64c772, v75
	v_fma_f32 v99, 0x3f3bfb3b, v101, -v99
	v_fma_f32 v100, 0x3f3bfb3b, v102, -v100
	;; [unrolled: 1-line block ×4, first 2 shown]
	v_fmamk_f32 v101, v67, 0x3eae86e6, v104
	v_fmamk_f32 v102, v73, 0x3eae86e6, v105
	v_fma_f32 v105, 0x3f5ff5aa, v41, -v105
	v_fma_f32 v67, 0xbeae86e6, v67, -v106
	v_fmamk_f32 v41, v78, 0xbf955555, v37
	v_fma_f32 v104, 0x3f5ff5aa, v39, -v104
	v_fma_f32 v73, 0xbeae86e6, v73, -v107
	v_fmamk_f32 v39, v77, 0xbf955555, v36
	v_fmac_f32_e32 v67, 0x3ee1c552, v38
	v_add_f32_e32 v107, v75, v41
	v_fmac_f32_e32 v101, 0x3ee1c552, v38
	v_fmac_f32_e32 v102, 0x3ee1c552, v40
	;; [unrolled: 1-line block ×3, first 2 shown]
	v_add_f32_e32 v68, v68, v39
	v_add_f32_e32 v106, v76, v41
	;; [unrolled: 1-line block ×3, first 2 shown]
	v_fmac_f32_e32 v104, 0x3ee1c552, v38
	v_fmac_f32_e32 v105, 0x3ee1c552, v40
	v_add_f32_e32 v77, v99, v39
	v_add_f32_e32 v78, v100, v41
	v_sub_f32_e32 v41, v107, v67
	v_add_f32_e32 v100, v67, v107
	v_add_co_u32 v67, s1, 0x2000, v42
	v_add_f32_e32 v38, v102, v68
	v_sub_f32_e32 v39, v106, v101
	v_add_f32_e32 v40, v73, v74
	v_sub_f32_e32 v99, v74, v73
	v_sub_f32_e32 v73, v68, v102
	v_add_co_ci_u32_e64 v68, s1, 0, v43, s1
	v_sub_f32_e32 v75, v77, v105
	v_add_f32_e32 v76, v104, v78
	v_add_f32_e32 v77, v105, v77
	v_sub_f32_e32 v78, v78, v104
	v_add_f32_e32 v74, v101, v106
	ds_write2_b64 v79, v[36:37], v[38:39] offset1:176
	ds_write2_b64 v44, v[40:41], v[75:76] offset0:32 offset1:208
	ds_write2_b64 v103, v[77:78], v[99:100] offset0:64 offset1:240
	ds_write_b64 v79, v[73:74] offset:8448
	s_waitcnt lgkmcnt(0)
	s_barrier
	buffer_gl0_inv
	global_load_dwordx2 v[38:39], v[67:68], off offset:1664
	v_add_co_u32 v36, s1, 0x2680, v42
	v_add_co_ci_u32_e64 v37, s1, 0, v43, s1
	v_add_co_u32 v40, s1, 0x3800, v42
	v_add_co_ci_u32_e64 v41, s1, 0, v43, s1
	;; [unrolled: 2-line block ×4, first 2 shown]
	s_clause 0x4
	global_load_dwordx2 v[99:100], v[40:41], off offset:1856
	global_load_dwordx2 v[101:102], v[75:76], off offset:384
	;; [unrolled: 1-line block ×5, first 2 shown]
	ds_read2_b64 v[40:43], v79 offset1:176
	ds_read_b64 v[109:110], v79 offset:2816
	ds_read_b64 v[111:112], v79 offset:7744
	s_waitcnt vmcnt(5) lgkmcnt(2)
	v_mul_f32_e32 v44, v41, v39
	v_mul_f32_e32 v76, v40, v39
	v_fma_f32 v75, v40, v38, -v44
	v_fmac_f32_e32 v76, v41, v38
	v_add_nc_u32_e32 v41, 0x1200, v79
	v_add_nc_u32_e32 v40, 0x400, v79
	ds_write_b64 v79, v[75:76]
	ds_read2_b64 v[75:78], v41 offset0:40 offset1:216
	s_waitcnt vmcnt(3) lgkmcnt(3)
	v_mul_f32_e32 v44, v109, v102
	s_waitcnt vmcnt(2)
	v_mul_f32_e32 v38, v43, v104
	v_mul_f32_e32 v39, v42, v104
	;; [unrolled: 1-line block ×3, first 2 shown]
	s_waitcnt vmcnt(1) lgkmcnt(2)
	v_mul_f32_e32 v113, v112, v106
	v_mul_f32_e32 v102, v111, v106
	v_fma_f32 v38, v42, v103, -v38
	v_fmac_f32_e32 v39, v43, v103
	v_fma_f32 v43, v109, v101, -v104
	v_fmac_f32_e32 v44, v110, v101
	;; [unrolled: 2-line block ×3, first 2 shown]
	s_waitcnt vmcnt(0) lgkmcnt(0)
	v_mul_f32_e32 v42, v76, v108
	v_mul_f32_e32 v104, v75, v108
	;; [unrolled: 1-line block ×4, first 2 shown]
	v_fma_f32 v103, v75, v107, -v42
	v_fmac_f32_e32 v104, v76, v107
	v_fma_f32 v107, v77, v99, -v106
	v_fmac_f32_e32 v108, v78, v99
	ds_write2_b64 v40, v[38:39], v[43:44] offset0:48 offset1:224
	ds_write2_b64 v41, v[103:104], v[107:108] offset0:40 offset1:216
	ds_write_b64 v79, v[101:102] offset:7744
	s_and_saveexec_b32 s2, vcc_lo
	s_cbranch_execz .LBB0_25
; %bb.24:
	v_add_co_u32 v38, s1, 0x1000, v36
	v_add_co_ci_u32_e64 v39, s1, 0, v37, s1
	v_add_co_u32 v36, s1, 0x2000, v36
	v_add_co_ci_u32_e64 v37, s1, 0, v37, s1
	s_clause 0x1
	global_load_dwordx2 v[38:39], v[38:39], off offset:128
	global_load_dwordx2 v[36:37], v[36:37], off offset:960
	ds_read_b64 v[42:43], v79 offset:4224
	ds_read_b64 v[75:76], v79 offset:9152
	s_waitcnt vmcnt(1) lgkmcnt(1)
	v_mul_f32_e32 v77, v43, v39
	v_mul_f32_e32 v40, v42, v39
	s_waitcnt vmcnt(0) lgkmcnt(0)
	v_mul_f32_e32 v78, v76, v37
	v_mul_f32_e32 v44, v75, v37
	v_fma_f32 v39, v42, v38, -v77
	v_fmac_f32_e32 v40, v43, v38
	v_fma_f32 v43, v75, v36, -v78
	v_fmac_f32_e32 v44, v76, v36
	ds_write_b64 v79, v[39:40] offset:4224
	ds_write_b64 v79, v[43:44] offset:9152
.LBB0_25:
	s_or_b32 exec_lo, exec_lo, s2
	s_waitcnt lgkmcnt(0)
	s_barrier
	buffer_gl0_inv
	ds_read2_b64 v[37:40], v79 offset1:176
	ds_read2_b64 v[41:44], v41 offset0:40 offset1:216
	ds_read_b64 v[75:76], v79 offset:2816
	ds_read_b64 v[77:78], v79 offset:7744
	v_lshlrev_b32_e32 v99, 3, v94
	v_lshlrev_b32_e32 v94, 3, v95
	s_and_saveexec_b32 s1, vcc_lo
	s_cbranch_execz .LBB0_27
; %bb.26:
	ds_read_b64 v[73:74], v79 offset:4224
	ds_read_b64 v[45:46], v79 offset:9152
.LBB0_27:
	s_or_b32 exec_lo, exec_lo, s1
	s_waitcnt lgkmcnt(2)
	v_sub_f32_e32 v103, v38, v42
	v_sub_f32_e32 v43, v39, v43
	;; [unrolled: 1-line block ×4, first 2 shown]
	s_waitcnt lgkmcnt(0)
	v_sub_f32_e32 v77, v75, v77
	v_fma_f32 v101, v38, 2.0, -v103
	v_fma_f32 v41, v39, 2.0, -v43
	v_sub_f32_e32 v38, v73, v45
	v_sub_f32_e32 v39, v74, v46
	;; [unrolled: 1-line block ×3, first 2 shown]
	v_fma_f32 v100, v37, 2.0, -v102
	v_fma_f32 v42, v40, 2.0, -v44
	v_fma_f32 v36, v73, 2.0, -v38
	v_fma_f32 v37, v74, 2.0, -v39
	v_fma_f32 v75, v75, 2.0, -v77
	v_fma_f32 v76, v76, 2.0, -v78
	s_barrier
	buffer_gl0_inv
	ds_write_b128 v86, v[100:103]
	ds_write_b128 v99, v[41:44]
	ds_write_b128 v94, v[75:78]
	s_and_saveexec_b32 s1, vcc_lo
	s_cbranch_execz .LBB0_29
; %bb.28:
	ds_write_b128 v47, v[36:39]
.LBB0_29:
	s_or_b32 exec_lo, exec_lo, s1
	v_add_nc_u32_e32 v44, 0x1200, v79
	s_waitcnt lgkmcnt(0)
	s_barrier
	buffer_gl0_inv
	ds_read2_b64 v[40:43], v79 offset1:176
	ds_read2_b64 v[44:47], v44 offset0:40 offset1:216
	ds_read_b64 v[73:74], v79 offset:2816
	ds_read_b64 v[75:76], v79 offset:7744
	s_and_saveexec_b32 s1, vcc_lo
	s_cbranch_execz .LBB0_31
; %bb.30:
	ds_read_b64 v[36:37], v79 offset:4224
	ds_read_b64 v[38:39], v79 offset:9152
.LBB0_31:
	s_or_b32 exec_lo, exec_lo, s1
	s_waitcnt lgkmcnt(2)
	v_mul_f32_e32 v77, v49, v45
	v_mul_f32_e32 v78, v49, v44
	;; [unrolled: 1-line block ×4, first 2 shown]
	s_waitcnt lgkmcnt(0)
	v_mul_f32_e32 v95, v49, v76
	v_fmac_f32_e32 v77, v48, v44
	v_fma_f32 v44, v48, v45, -v78
	v_mul_f32_e32 v45, v49, v75
	v_fmac_f32_e32 v86, v48, v46
	v_fma_f32 v46, v48, v47, -v94
	v_mul_f32_e32 v47, v49, v39
	v_mul_f32_e32 v49, v49, v38
	v_fma_f32 v45, v48, v76, -v45
	v_sub_f32_e32 v76, v41, v44
	v_fmac_f32_e32 v95, v48, v75
	v_fmac_f32_e32 v47, v48, v38
	v_fma_f32 v44, v48, v39, -v49
	v_sub_f32_e32 v75, v40, v77
	v_sub_f32_e32 v39, v43, v46
	;; [unrolled: 1-line block ×7, first 2 shown]
	v_fma_f32 v40, v40, 2.0, -v75
	v_fma_f32 v41, v41, 2.0, -v76
	;; [unrolled: 1-line block ×8, first 2 shown]
	s_barrier
	buffer_gl0_inv
	ds_write2_b64 v90, v[40:41], v[75:76] offset1:2
	ds_write2_b64 v89, v[42:43], v[38:39] offset1:2
	;; [unrolled: 1-line block ×3, first 2 shown]
	s_and_saveexec_b32 s1, vcc_lo
	s_cbranch_execz .LBB0_33
; %bb.32:
	v_and_or_b32 v36, 0x5fc, v82, v83
	v_lshlrev_b32_e32 v36, 3, v36
	ds_write2_b64 v36, v[44:45], v[46:47] offset1:2
.LBB0_33:
	s_or_b32 exec_lo, exec_lo, s1
	v_add_nc_u32_e32 v40, 0x1200, v79
	s_waitcnt lgkmcnt(0)
	s_barrier
	buffer_gl0_inv
	ds_read2_b64 v[36:39], v79 offset1:176
	ds_read2_b64 v[40:43], v40 offset0:40 offset1:216
	ds_read_b64 v[48:49], v79 offset:2816
	ds_read_b64 v[73:74], v79 offset:7744
	s_and_saveexec_b32 s1, vcc_lo
	s_cbranch_execz .LBB0_35
; %bb.34:
	ds_read_b64 v[44:45], v79 offset:4224
	ds_read_b64 v[46:47], v79 offset:9152
.LBB0_35:
	s_or_b32 exec_lo, exec_lo, s1
	s_waitcnt lgkmcnt(2)
	v_mul_f32_e32 v75, v51, v41
	s_waitcnt lgkmcnt(0)
	v_mul_f32_e32 v83, v51, v74
	v_mul_f32_e32 v76, v51, v40
	v_mul_f32_e32 v77, v51, v43
	v_mul_f32_e32 v78, v51, v42
	v_fmac_f32_e32 v75, v50, v40
	v_mul_f32_e32 v40, v51, v73
	v_fmac_f32_e32 v83, v50, v73
	v_mul_f32_e32 v73, v51, v47
	v_mul_f32_e32 v51, v51, v46
	v_fma_f32 v41, v50, v41, -v76
	v_fmac_f32_e32 v77, v50, v42
	v_fma_f32 v43, v50, v43, -v78
	v_fmac_f32_e32 v73, v50, v46
	v_fma_f32 v47, v50, v47, -v51
	v_fma_f32 v74, v50, v74, -v40
	v_sub_f32_e32 v40, v36, v75
	v_sub_f32_e32 v41, v37, v41
	;; [unrolled: 1-line block ×8, first 2 shown]
	v_fma_f32 v36, v36, 2.0, -v40
	v_fma_f32 v37, v37, 2.0, -v41
	;; [unrolled: 1-line block ×8, first 2 shown]
	s_barrier
	buffer_gl0_inv
	ds_write2_b64 v93, v[36:37], v[40:41] offset1:4
	ds_write2_b64 v92, v[38:39], v[42:43] offset1:4
	;; [unrolled: 1-line block ×3, first 2 shown]
	s_and_saveexec_b32 s1, vcc_lo
	s_cbranch_execz .LBB0_37
; %bb.36:
	v_and_or_b32 v36, 0x5f8, v82, v85
	v_lshlrev_b32_e32 v36, 3, v36
	ds_write2_b64 v36, v[73:74], v[46:47] offset1:4
.LBB0_37:
	s_or_b32 exec_lo, exec_lo, s1
	v_add_nc_u32_e32 v36, 0x1200, v79
	s_waitcnt lgkmcnt(0)
	s_barrier
	buffer_gl0_inv
	ds_read2_b64 v[41:44], v79 offset1:176
	ds_read2_b64 v[36:39], v36 offset0:40 offset1:216
	ds_read_b64 v[75:76], v79 offset:2816
	ds_read_b64 v[48:49], v79 offset:7744
	s_and_saveexec_b32 s1, vcc_lo
	s_cbranch_execz .LBB0_39
; %bb.38:
	ds_read_b64 v[73:74], v79 offset:4224
	ds_read_b64 v[46:47], v79 offset:9152
.LBB0_39:
	s_or_b32 exec_lo, exec_lo, s1
	s_waitcnt lgkmcnt(2)
	v_mul_f32_e32 v40, v70, v37
	v_mul_f32_e32 v45, v70, v36
	;; [unrolled: 1-line block ×4, first 2 shown]
	s_waitcnt lgkmcnt(0)
	v_mul_f32_e32 v77, v70, v49
	v_fmac_f32_e32 v40, v69, v36
	v_fma_f32 v36, v69, v37, -v45
	v_mul_f32_e32 v37, v70, v48
	v_fmac_f32_e32 v50, v69, v38
	v_mul_f32_e32 v78, v70, v47
	v_fma_f32 v45, v69, v39, -v51
	v_fmac_f32_e32 v77, v69, v48
	v_fma_f32 v49, v69, v49, -v37
	v_mul_f32_e32 v37, v70, v46
	v_sub_f32_e32 v38, v41, v40
	v_sub_f32_e32 v39, v42, v36
	v_fmac_f32_e32 v78, v69, v46
	v_sub_f32_e32 v50, v43, v50
	v_fma_f32 v40, v69, v47, -v37
	v_sub_f32_e32 v51, v44, v45
	v_fma_f32 v37, v42, 2.0, -v39
	v_sub_f32_e32 v42, v75, v77
	v_fma_f32 v48, v43, 2.0, -v50
	v_sub_f32_e32 v43, v76, v49
	v_sub_f32_e32 v46, v73, v78
	;; [unrolled: 1-line block ×3, first 2 shown]
	v_fma_f32 v36, v41, 2.0, -v38
	v_fma_f32 v49, v44, 2.0, -v51
	;; [unrolled: 1-line block ×6, first 2 shown]
	s_barrier
	buffer_gl0_inv
	ds_write2_b64 v98, v[36:37], v[38:39] offset1:8
	ds_write2_b64 v97, v[48:49], v[50:51] offset1:8
	;; [unrolled: 1-line block ×3, first 2 shown]
	s_and_saveexec_b32 s1, vcc_lo
	s_cbranch_execz .LBB0_41
; %bb.40:
	v_and_or_b32 v69, 0x5f0, v82, v87
	v_lshlrev_b32_e32 v69, 3, v69
	ds_write2_b64 v69, v[44:45], v[46:47] offset1:8
.LBB0_41:
	s_or_b32 exec_lo, exec_lo, s1
	s_waitcnt lgkmcnt(0)
	s_barrier
	buffer_gl0_inv
	s_and_saveexec_b32 s1, s0
	s_cbranch_execz .LBB0_43
; %bb.42:
	v_add_nc_u32_e32 v32, 0x400, v79
	v_add_nc_u32_e32 v33, 0xc00, v79
	;; [unrolled: 1-line block ×4, first 2 shown]
	ds_read2_b64 v[36:39], v79 offset1:112
	ds_read2_b64 v[48:51], v32 offset0:96 offset1:208
	ds_read2_b64 v[40:43], v33 offset0:64 offset1:176
	;; [unrolled: 1-line block ×4, first 2 shown]
	ds_read_b64 v[71:72], v79 offset:8960
.LBB0_43:
	s_or_b32 exec_lo, exec_lo, s1
	s_waitcnt lgkmcnt(0)
	s_barrier
	buffer_gl0_inv
	s_and_saveexec_b32 s1, s0
	s_cbranch_execz .LBB0_45
; %bb.44:
	v_mul_f32_e32 v69, v13, v39
	v_mul_f32_e32 v70, v19, v72
	;; [unrolled: 1-line block ×5, first 2 shown]
	v_fmac_f32_e32 v69, v12, v38
	v_fmac_f32_e32 v70, v18, v71
	v_mul_f32_e32 v38, v13, v38
	v_fmac_f32_e32 v73, v14, v48
	v_fmac_f32_e32 v74, v16, v34
	v_mul_f32_e32 v17, v17, v34
	v_sub_f32_e32 v13, v69, v70
	v_mul_f32_e32 v15, v15, v48
	v_fma_f32 v18, v18, v72, -v19
	v_fma_f32 v19, v12, v39, -v38
	v_sub_f32_e32 v12, v73, v74
	v_fma_f32 v16, v16, v35, -v17
	v_fma_f32 v14, v14, v49, -v15
	v_mul_f32_e32 v15, 0xbe903f40, v13
	v_add_f32_e32 v17, v18, v19
	v_mul_f32_e32 v34, 0x3f0a6770, v12
	v_mul_f32_e32 v48, v5, v51
	v_add_f32_e32 v35, v16, v14
	v_mul_f32_e32 v49, v11, v33
	v_fmamk_f32 v38, v17, 0xbf75a155, v15
	v_mul_f32_e32 v11, v11, v32
	v_mul_f32_e32 v5, v5, v50
	v_fmamk_f32 v39, v35, 0x3f575c64, v34
	v_fmac_f32_e32 v48, v4, v50
	v_add_f32_e32 v38, v37, v38
	v_fmac_f32_e32 v49, v10, v32
	v_fma_f32 v10, v10, v33, -v11
	v_fma_f32 v11, v4, v51, -v5
	v_mul_f32_e32 v4, v9, v46
	v_add_f32_e32 v32, v39, v38
	v_mul_f32_e32 v38, v7, v41
	v_mul_f32_e32 v39, v9, v47
	v_sub_f32_e32 v51, v19, v18
	v_sub_f32_e32 v50, v48, v49
	v_mul_f32_e32 v5, v7, v40
	v_fmac_f32_e32 v38, v6, v40
	v_fmac_f32_e32 v39, v8, v46
	v_fma_f32 v40, v8, v47, -v4
	v_mul_f32_e32 v47, v3, v45
	v_add_f32_e32 v71, v70, v69
	v_mul_f32_e32 v72, 0xbe903f40, v51
	v_sub_f32_e32 v75, v14, v16
	v_mul_f32_e32 v7, 0xbf4178ce, v50
	v_add_f32_e32 v9, v10, v11
	v_sub_f32_e32 v33, v38, v39
	v_fma_f32 v41, v6, v41, -v5
	v_mul_f32_e32 v46, v1, v43
	v_fmac_f32_e32 v47, v2, v44
	v_fma_f32 v76, 0xbf75a155, v71, -v72
	v_add_f32_e32 v77, v74, v73
	v_mul_f32_e32 v78, 0x3f0a6770, v75
	v_mul_f32_e32 v3, v3, v44
	v_sub_f32_e32 v44, v11, v10
	v_mul_f32_e32 v1, v1, v42
	v_fmamk_f32 v4, v9, 0xbf27a4f4, v7
	v_mul_f32_e32 v5, 0x3f68dda4, v33
	v_add_f32_e32 v8, v40, v41
	v_fmac_f32_e32 v46, v0, v42
	v_add_f32_e32 v42, v36, v76
	v_fma_f32 v76, 0x3f575c64, v77, -v78
	v_add_f32_e32 v82, v49, v48
	v_mul_f32_e32 v83, 0xbf4178ce, v44
	v_fma_f32 v45, v2, v45, -v3
	v_sub_f32_e32 v85, v41, v40
	v_fma_f32 v43, v0, v43, -v1
	v_add_f32_e32 v4, v4, v32
	v_fmamk_f32 v6, v8, 0x3ed4b147, v5
	v_sub_f32_e32 v32, v46, v47
	v_add_f32_e32 v0, v76, v42
	v_fma_f32 v1, 0xbf27a4f4, v82, -v83
	v_add_f32_e32 v42, v39, v38
	v_mul_f32_e32 v2, 0x3f68dda4, v85
	v_sub_f32_e32 v86, v43, v45
	v_add_f32_e32 v4, v6, v4
	v_mul_f32_e32 v6, 0xbf7d64f0, v32
	v_add_f32_e32 v76, v45, v43
	v_add_f32_e32 v0, v1, v0
	v_fma_f32 v1, 0xbf75a155, v17, -v15
	v_fma_f32 v3, 0x3ed4b147, v42, -v2
	v_add_f32_e32 v87, v47, v46
	v_mul_f32_e32 v15, 0xbf7d64f0, v86
	v_fmamk_f32 v88, v76, 0xbe11bafb, v6
	v_add_f32_e32 v89, v37, v1
	v_fma_f32 v34, 0x3f575c64, v35, -v34
	v_add_f32_e32 v0, v3, v0
	v_fma_f32 v3, 0xbe11bafb, v87, -v15
	v_fmac_f32_e32 v72, 0xbf75a155, v71
	v_add_f32_e32 v1, v88, v4
	v_add_f32_e32 v4, v34, v89
	v_fma_f32 v7, 0xbf27a4f4, v9, -v7
	v_add_f32_e32 v0, v3, v0
	v_add_f32_e32 v3, v36, v72
	v_fmac_f32_e32 v78, 0x3f575c64, v77
	v_fma_f32 v5, 0x3ed4b147, v8, -v5
	v_add_f32_e32 v4, v7, v4
	v_fmac_f32_e32 v83, 0xbf27a4f4, v82
	v_fmac_f32_e32 v2, 0x3ed4b147, v42
	v_add_f32_e32 v3, v78, v3
	v_fma_f32 v6, 0xbe11bafb, v76, -v6
	v_add_f32_e32 v4, v5, v4
	v_mul_f32_e32 v88, 0xbf4178ce, v51
	v_mul_f32_e32 v34, 0xbf27a4f4, v17
	v_add_f32_e32 v3, v83, v3
	v_mul_f32_e32 v89, 0x3f7d64f0, v75
	v_mul_f32_e32 v72, 0xbe11bafb, v35
	v_fmac_f32_e32 v15, 0xbe11bafb, v87
	v_fmamk_f32 v7, v13, 0x3f4178ce, v34
	v_add_f32_e32 v2, v2, v3
	v_add_f32_e32 v3, v6, v4
	v_fmamk_f32 v4, v71, 0xbf27a4f4, v88
	v_mul_f32_e32 v91, 0xbe11bafb, v17
	v_fmamk_f32 v6, v77, 0xbe11bafb, v89
	v_mul_f32_e32 v92, 0xbf0a6770, v44
	v_add_f32_e32 v5, v37, v7
	v_add_f32_e32 v4, v36, v4
	v_fmamk_f32 v7, v12, 0xbf7d64f0, v72
	v_mul_f32_e32 v78, 0x3f575c64, v9
	v_add_f32_e32 v2, v15, v2
	v_fmamk_f32 v15, v13, 0x3f7d64f0, v91
	v_mul_f32_e32 v93, 0xbf75a155, v35
	;; [unrolled: 3-line block ×9, first 2 shown]
	v_add_f32_e32 v5, v7, v5
	v_fmamk_f32 v7, v32, 0xbf68dda4, v90
	v_add_f32_e32 v15, v95, v15
	v_fmamk_f32 v95, v33, 0x3f0a6770, v98
	;; [unrolled: 2-line block ×3, first 2 shown]
	v_mul_f32_e32 v100, 0x3e903f40, v75
	v_mul_f32_e32 v101, 0x3ed4b147, v17
	v_add_f32_e32 v5, v7, v5
	v_add_f32_e32 v7, v95, v15
	;; [unrolled: 1-line block ×3, first 2 shown]
	v_fmamk_f32 v15, v77, 0xbf75a155, v100
	v_mul_f32_e32 v102, 0x3f68dda4, v44
	v_fmamk_f32 v104, v13, 0x3f68dda4, v101
	v_mul_f32_e32 v105, 0xbf27a4f4, v35
	v_mul_f32_e32 v95, 0xbf27a4f4, v76
	v_add_f32_e32 v6, v15, v6
	v_fmamk_f32 v15, v82, 0x3ed4b147, v102
	v_mul_f32_e32 v106, 0xbf0a6770, v85
	v_add_f32_e32 v104, v37, v104
	v_fmamk_f32 v107, v12, 0x3f4178ce, v105
	v_mul_f32_e32 v108, 0xbf75a155, v9
	v_fmamk_f32 v103, v32, 0x3f4178ce, v95
	v_add_f32_e32 v6, v15, v6
	v_fmamk_f32 v15, v42, 0x3f575c64, v106
	v_mul_f32_e32 v109, 0xbf4178ce, v86
	v_add_f32_e32 v104, v107, v104
	v_fmamk_f32 v107, v50, 0xbe903f40, v108
	v_mul_f32_e32 v110, 0xbe11bafb, v8
	v_mul_f32_e32 v111, 0xbf68dda4, v51
	v_add_f32_e32 v6, v15, v6
	v_fmamk_f32 v15, v87, 0xbf27a4f4, v109
	v_add_f32_e32 v104, v107, v104
	v_fmamk_f32 v107, v33, 0xbf7d64f0, v110
	;; [unrolled: 2-line block ×3, first 2 shown]
	v_mul_f32_e32 v112, 0xbf4178ce, v75
	v_add_f32_e32 v6, v15, v6
	v_add_f32_e32 v15, v107, v104
	v_mul_f32_e32 v104, 0x3f575c64, v17
	v_add_f32_e32 v17, v36, v103
	v_fmamk_f32 v103, v77, 0xbf27a4f4, v112
	v_mul_f32_e32 v107, 0x3e903f40, v44
	v_mul_f32_e32 v115, 0x3f7d64f0, v85
	;; [unrolled: 1-line block ×3, first 2 shown]
	v_fmamk_f32 v114, v13, 0x3f0a6770, v104
	v_add_f32_e32 v17, v103, v17
	v_fmamk_f32 v103, v82, 0xbf75a155, v107
	v_mul_f32_e32 v35, 0x3ed4b147, v35
	v_mul_f32_e32 v117, 0xbe11bafb, v9
	v_add_f32_e32 v19, v19, v37
	v_add_f32_e32 v114, v37, v114
	;; [unrolled: 1-line block ×3, first 2 shown]
	v_fmamk_f32 v17, v42, 0xbe11bafb, v115
	v_mul_f32_e32 v103, 0x3f0a6770, v86
	v_fmamk_f32 v116, v12, 0x3f68dda4, v35
	v_mul_f32_e32 v118, 0xbf27a4f4, v8
	v_fmamk_f32 v8, v32, 0xbf0a6770, v113
	v_add_f32_e32 v17, v17, v9
	v_fmamk_f32 v119, v87, 0x3f575c64, v103
	v_mul_f32_e32 v51, 0xbf0a6770, v51
	v_add_f32_e32 v14, v14, v19
	v_add_f32_e32 v114, v116, v114
	v_fmamk_f32 v116, v50, 0x3f7d64f0, v117
	v_add_f32_e32 v9, v8, v15
	v_add_f32_e32 v8, v119, v17
	;; [unrolled: 1-line block ×3, first 2 shown]
	v_fmamk_f32 v19, v71, 0x3f575c64, v51
	v_mul_f32_e32 v69, 0xbf68dda4, v75
	v_add_f32_e32 v11, v11, v14
	v_add_f32_e32 v114, v116, v114
	v_fmamk_f32 v116, v33, 0x3f4178ce, v118
	v_mul_f32_e32 v75, 0xbf75a155, v76
	v_add_f32_e32 v14, v73, v17
	v_add_f32_e32 v17, v36, v19
	;; [unrolled: 4-line block ×3, first 2 shown]
	v_add_f32_e32 v14, v48, v14
	v_fmamk_f32 v41, v32, 0x3e903f40, v75
	v_add_f32_e32 v17, v19, v17
	v_fmamk_f32 v19, v82, 0xbe11bafb, v44
	v_add_f32_e32 v43, v43, v11
	v_add_f32_e32 v14, v38, v14
	;; [unrolled: 1-line block ×3, first 2 shown]
	v_mul_f32_e32 v38, 0xbf4178ce, v85
	v_add_f32_e32 v15, v19, v17
	v_add_f32_e32 v17, v45, v43
	v_mul_f32_e32 v41, 0xbe903f40, v86
	v_fmac_f32_e32 v34, 0xbf4178ce, v13
	v_fmamk_f32 v19, v42, 0xbf27a4f4, v38
	v_fmac_f32_e32 v72, 0x3f7d64f0, v12
	v_add_f32_e32 v17, v40, v17
	v_add_f32_e32 v14, v46, v14
	;; [unrolled: 1-line block ×4, first 2 shown]
	v_fmamk_f32 v19, v87, 0xbf75a155, v41
	v_add_f32_e32 v17, v10, v17
	v_fmac_f32_e32 v78, 0xbf0a6770, v50
	v_add_f32_e32 v34, v72, v34
	v_fmac_f32_e32 v91, 0xbf7d64f0, v13
	v_add_f32_e32 v10, v19, v15
	v_add_f32_e32 v15, v16, v17
	v_fma_f32 v16, 0xbf27a4f4, v71, -v88
	v_add_f32_e32 v14, v47, v14
	v_add_f32_e32 v17, v78, v34
	v_fma_f32 v19, 0xbe11bafb, v71, -v99
	;; [unrolled: 3-line block ×3, first 2 shown]
	v_add_f32_e32 v34, v37, v91
	v_fmac_f32_e32 v93, 0x3e903f40, v12
	v_add_f32_e32 v14, v39, v14
	v_add_f32_e32 v19, v36, v19
	;; [unrolled: 1-line block ×3, first 2 shown]
	v_fma_f32 v18, 0x3f575c64, v82, -v92
	v_fma_f32 v39, 0xbf75a155, v77, -v100
	v_add_f32_e32 v34, v93, v34
	v_fmac_f32_e32 v96, 0x3f68dda4, v50
	v_fmac_f32_e32 v98, 0xbf0a6770, v33
	v_add_f32_e32 v16, v18, v16
	v_fma_f32 v18, 0xbf75a155, v42, -v94
	v_add_f32_e32 v19, v39, v19
	v_fma_f32 v39, 0x3ed4b147, v82, -v102
	v_add_f32_e32 v34, v96, v34
	v_fmac_f32_e32 v95, 0xbf4178ce, v32
	v_add_f32_e32 v16, v18, v16
	v_fma_f32 v18, 0x3ed4b147, v87, -v97
	v_fma_f32 v40, 0x3ed4b147, v71, -v111
	v_add_f32_e32 v34, v98, v34
	v_fmac_f32_e32 v101, 0xbf68dda4, v13
	v_fmac_f32_e32 v104, 0xbf0a6770, v13
	v_add_f32_e32 v16, v18, v16
	v_add_f32_e32 v18, v39, v19
	v_fma_f32 v19, 0x3f575c64, v42, -v106
	v_add_f32_e32 v39, v37, v101
	v_fmac_f32_e32 v105, 0xbf4178ce, v12
	v_add_f32_e32 v37, v37, v104
	v_fmac_f32_e32 v35, 0xbf68dda4, v12
	v_add_f32_e32 v18, v19, v18
	v_add_f32_e32 v19, v95, v34
	;; [unrolled: 1-line block ×3, first 2 shown]
	v_fma_f32 v40, 0xbf27a4f4, v77, -v112
	v_add_f32_e32 v39, v105, v39
	v_fmac_f32_e32 v108, 0x3e903f40, v50
	v_add_f32_e32 v14, v49, v14
	v_add_f32_e32 v35, v35, v37
	;; [unrolled: 1-line block ×3, first 2 shown]
	v_fma_f32 v34, 0xbf75a155, v82, -v107
	v_fma_f32 v40, 0x3f575c64, v71, -v51
	v_fmac_f32_e32 v117, 0xbf7d64f0, v50
	v_fmac_f32_e32 v83, 0xbe903f40, v33
	v_add_f32_e32 v39, v108, v39
	v_add_f32_e32 v12, v34, v13
	;; [unrolled: 1-line block ×3, first 2 shown]
	v_fma_f32 v34, 0x3ed4b147, v77, -v69
	v_fma_f32 v36, 0xbe11bafb, v42, -v115
	v_fmac_f32_e32 v110, 0x3f7d64f0, v33
	v_add_f32_e32 v14, v74, v14
	v_add_f32_e32 v35, v117, v35
	;; [unrolled: 1-line block ×3, first 2 shown]
	v_fma_f32 v34, 0xbe11bafb, v82, -v44
	v_add_f32_e32 v12, v36, v12
	v_mul_u32_u24_e32 v36, 0xb0, v84
	v_fmac_f32_e32 v118, 0xbf4178ce, v33
	v_fma_f32 v33, 0xbf27a4f4, v42, -v38
	v_add_f32_e32 v13, v34, v13
	v_add_f32_e32 v17, v83, v17
	v_or_b32_e32 v36, v36, v81
	v_fmac_f32_e32 v90, 0x3f68dda4, v32
	v_fma_f32 v43, 0xbf27a4f4, v87, -v109
	v_add_f32_e32 v39, v110, v39
	v_fmac_f32_e32 v113, 0x3f0a6770, v32
	v_fma_f32 v34, 0x3f575c64, v87, -v103
	v_add_f32_e32 v14, v70, v14
	v_add_f32_e32 v35, v118, v35
	v_fmac_f32_e32 v75, 0xbe903f40, v32
	v_add_f32_e32 v32, v33, v13
	v_fma_f32 v37, 0xbf75a155, v87, -v41
	v_lshlrev_b32_e32 v36, 3, v36
	v_add_f32_e32 v17, v90, v17
	v_add_f32_e32 v18, v43, v18
	;; [unrolled: 1-line block ×6, first 2 shown]
	ds_write2_b64 v36, v[14:15], v[10:11] offset1:16
	ds_write2_b64 v36, v[8:9], v[6:7] offset0:32 offset1:48
	ds_write2_b64 v36, v[4:5], v[2:3] offset0:64 offset1:80
	;; [unrolled: 1-line block ×4, first 2 shown]
	ds_write_b64 v36, v[32:33] offset:1280
.LBB0_45:
	s_or_b32 exec_lo, exec_lo, s1
	s_waitcnt lgkmcnt(0)
	s_barrier
	buffer_gl0_inv
	ds_read2_b64 v[0:3], v79 offset1:176
	v_add_nc_u32_e32 v14, 0xa00, v79
	v_add_nc_u32_e32 v15, 0x1400, v79
	ds_read_b64 v[12:13], v79 offset:8448
	ds_read2_b64 v[4:7], v14 offset0:32 offset1:208
	ds_read2_b64 v[8:11], v15 offset0:64 offset1:240
	s_mov_b32 s2, 0x606a63be
	s_mov_b32 s3, 0x3f4a98ef
	s_mul_hi_u32 s1, s8, 0x268
	s_waitcnt lgkmcnt(3)
	v_mul_f32_e32 v16, v29, v3
	v_mul_f32_e32 v17, v29, v2
	s_waitcnt lgkmcnt(2)
	v_mul_f32_e32 v18, v23, v13
	v_mul_f32_e32 v19, v23, v12
	v_fmac_f32_e32 v16, v28, v2
	v_fma_f32 v2, v28, v3, -v17
	s_waitcnt lgkmcnt(1)
	v_mul_f32_e32 v3, v31, v5
	v_mul_f32_e32 v17, v31, v4
	;; [unrolled: 1-line block ×4, first 2 shown]
	s_waitcnt lgkmcnt(0)
	v_mul_f32_e32 v29, v21, v11
	v_mul_f32_e32 v21, v21, v10
	v_mul_f32_e32 v28, v27, v9
	v_mul_f32_e32 v27, v27, v8
	v_fmac_f32_e32 v18, v22, v12
	v_fma_f32 v12, v22, v13, -v19
	v_fmac_f32_e32 v3, v30, v4
	v_fma_f32 v4, v30, v5, -v17
	v_fma_f32 v5, v24, v7, -v25
	v_fmac_f32_e32 v29, v20, v10
	v_fma_f32 v7, v20, v11, -v21
	v_fmac_f32_e32 v23, v24, v6
	v_fmac_f32_e32 v28, v26, v8
	v_fma_f32 v6, v26, v9, -v27
	v_add_f32_e32 v8, v16, v18
	v_add_f32_e32 v9, v2, v12
	v_sub_f32_e32 v2, v2, v12
	v_add_f32_e32 v11, v3, v29
	v_add_f32_e32 v12, v4, v7
	v_sub_f32_e32 v10, v16, v18
	v_sub_f32_e32 v3, v3, v29
	;; [unrolled: 1-line block ×3, first 2 shown]
	v_add_f32_e32 v7, v23, v28
	v_add_f32_e32 v13, v5, v6
	v_sub_f32_e32 v16, v28, v23
	v_sub_f32_e32 v5, v6, v5
	v_add_f32_e32 v6, v11, v8
	v_add_f32_e32 v17, v12, v9
	v_sub_f32_e32 v18, v11, v8
	v_sub_f32_e32 v19, v12, v9
	;; [unrolled: 1-line block ×6, first 2 shown]
	v_add_f32_e32 v20, v16, v3
	v_add_f32_e32 v21, v5, v4
	v_sub_f32_e32 v22, v16, v3
	v_sub_f32_e32 v23, v5, v4
	v_add_f32_e32 v6, v7, v6
	v_add_f32_e32 v7, v13, v17
	v_sub_f32_e32 v3, v3, v10
	v_sub_f32_e32 v4, v4, v2
	;; [unrolled: 1-line block ×4, first 2 shown]
	v_add_f32_e32 v10, v20, v10
	v_add_f32_e32 v2, v21, v2
	;; [unrolled: 1-line block ×4, first 2 shown]
	v_mul_f32_e32 v8, 0x3f4a47b2, v8
	v_mul_f32_e32 v9, 0x3f4a47b2, v9
	;; [unrolled: 1-line block ×8, first 2 shown]
	v_fmamk_f32 v6, v6, 0xbf955555, v0
	v_fmamk_f32 v7, v7, 0xbf955555, v1
	;; [unrolled: 1-line block ×4, first 2 shown]
	v_fma_f32 v13, 0x3f3bfb3b, v18, -v13
	v_fma_f32 v17, 0x3f3bfb3b, v19, -v17
	;; [unrolled: 1-line block ×4, first 2 shown]
	v_fmamk_f32 v18, v16, 0xbeae86e6, v20
	v_fmamk_f32 v19, v5, 0xbeae86e6, v21
	v_fma_f32 v20, 0xbf5ff5aa, v3, -v20
	v_fma_f32 v21, 0xbf5ff5aa, v4, -v21
	;; [unrolled: 1-line block ×4, first 2 shown]
	v_add_f32_e32 v23, v11, v6
	v_add_f32_e32 v24, v12, v7
	v_fmac_f32_e32 v18, 0xbee1c552, v10
	v_fmac_f32_e32 v19, 0xbee1c552, v2
	v_add_f32_e32 v11, v13, v6
	v_add_f32_e32 v12, v17, v7
	;; [unrolled: 1-line block ×4, first 2 shown]
	v_fmac_f32_e32 v20, 0xbee1c552, v10
	v_fmac_f32_e32 v22, 0xbee1c552, v2
	;; [unrolled: 1-line block ×4, first 2 shown]
	v_add_f32_e32 v2, v19, v23
	v_sub_f32_e32 v3, v24, v18
	v_add_f32_e32 v4, v22, v13
	v_sub_f32_e32 v5, v17, v16
	v_sub_f32_e32 v6, v11, v21
	v_add_f32_e32 v7, v20, v12
	v_add_f32_e32 v8, v21, v11
	v_sub_f32_e32 v9, v12, v20
	v_sub_f32_e32 v10, v13, v22
	v_add_f32_e32 v11, v16, v17
	v_sub_f32_e32 v12, v23, v19
	v_add_f32_e32 v13, v18, v24
	ds_write2_b64 v79, v[0:1], v[2:3] offset1:176
	ds_write2_b64 v14, v[4:5], v[6:7] offset0:32 offset1:208
	ds_write2_b64 v15, v[8:9], v[10:11] offset0:64 offset1:240
	ds_write_b64 v79, v[12:13] offset:8448
	s_waitcnt lgkmcnt(0)
	s_barrier
	buffer_gl0_inv
	ds_read2_b64 v[0:3], v79 offset1:176
	v_add_nc_u32_e32 v5, 0x1200, v79
	v_mad_u64_u32 v[10:11], null, s10, v56, 0
	ds_read_b64 v[17:18], v79 offset:2816
	ds_read_b64 v[19:20], v79 offset:7744
	s_waitcnt lgkmcnt(2)
	v_mul_f32_e32 v4, v62, v1
	v_mul_f32_e32 v21, v55, v2
	v_fmac_f32_e32 v4, v61, v0
	v_mul_f32_e32 v0, v62, v0
	s_waitcnt lgkmcnt(0)
	v_mul_f32_e32 v25, v66, v20
	v_mul_f32_e32 v26, v66, v19
	v_cvt_f64_f32_e32 v[8:9], v4
	ds_read2_b64 v[4:7], v5 offset0:40 offset1:216
	v_fma_f32 v12, v61, v1, -v0
	v_fmac_f32_e32 v25, v65, v19
	v_fma_f32 v20, v65, v20, -v26
	v_cvt_f64_f32_e32 v[25:26], v25
	v_cvt_f64_f32_e32 v[27:28], v20
	s_waitcnt lgkmcnt(0)
	v_mul_f32_e32 v16, v60, v5
	v_mul_f64 v[0:1], v[8:9], s[2:3]
	v_cvt_f64_f32_e32 v[8:9], v12
	v_mad_u64_u32 v[12:13], null, s8, v80, 0
	v_fmac_f32_e32 v16, v59, v4
	v_mul_f32_e32 v4, v60, v4
	v_mul_f32_e32 v23, v58, v7
	v_mad_u64_u32 v[14:15], null, s11, v56, v[11:12]
	v_cvt_f64_f32_e32 v[15:16], v16
	v_fmac_f32_e32 v23, v57, v6
	v_mov_b32_e32 v11, v14
	v_mad_u64_u32 v[13:14], null, s9, v80, v[13:14]
	v_mul_f32_e32 v14, v55, v3
	v_fma_f32 v3, v54, v3, -v21
	v_cvt_f32_f64_e32 v0, v[0:1]
	v_fma_f32 v1, v59, v5, -v4
	v_mul_f64 v[8:9], v[8:9], s[2:3]
	v_fmac_f32_e32 v14, v54, v2
	v_cvt_f64_f32_e32 v[21:22], v3
	v_mul_f32_e32 v3, v58, v6
	v_cvt_f64_f32_e32 v[4:5], v1
	v_lshlrev_b64 v[1:2], 3, v[10:11]
	v_mul_f32_e32 v6, v64, v17
	v_cvt_f64_f32_e32 v[23:24], v23
	v_fma_f32 v3, v57, v7, -v3
	v_mul_f64 v[10:11], v[15:16], s[2:3]
	v_mul_f32_e32 v16, v64, v18
	v_fma_f32 v18, v63, v18, -v6
	v_cvt_f64_f32_e32 v[14:15], v14
	v_cvt_f64_f32_e32 v[6:7], v3
	v_lshlrev_b64 v[12:13], 3, v[12:13]
	v_fmac_f32_e32 v16, v63, v17
	v_cvt_f64_f32_e32 v[18:19], v18
	v_cvt_f64_f32_e32 v[16:17], v16
	v_mul_f64 v[3:4], v[4:5], s[2:3]
	v_add_co_u32 v5, s0, s6, v1
	v_add_co_ci_u32_e64 v2, s0, s7, v2, s0
	v_cvt_f32_f64_e32 v1, v[8:9]
	v_add_co_u32 v8, s0, v5, v12
	v_add_co_ci_u32_e64 v9, s0, v2, v13, s0
	v_mul_f64 v[12:13], v[14:15], s[2:3]
	v_mul_f64 v[14:15], v[23:24], s[2:3]
	v_cvt_f32_f64_e32 v2, v[10:11]
	v_mul_f64 v[10:11], v[21:22], s[2:3]
	v_mul_f64 v[5:6], v[6:7], s[2:3]
	;; [unrolled: 1-line block ×6, first 2 shown]
	s_mul_i32 s0, s9, 0x268
	s_add_i32 s1, s1, s0
	s_mul_i32 s0, s8, 0x268
	v_cvt_f32_f64_e32 v3, v[3:4]
	s_lshl_b64 s[4:5], s[0:1], 3
	s_mul_i32 s1, s9, 0xfffffe48
	v_add_co_u32 v24, s0, v8, s4
	v_add_co_ci_u32_e64 v25, s0, s5, v9, s0
	s_mul_hi_u32 s0, s8, 0xfffffe48
	global_store_dwordx2 v[8:9], v[0:1], off
	s_sub_i32 s0, s0, s8
	v_cvt_f32_f64_e32 v4, v[14:15]
	s_add_i32 s1, s0, s1
	s_mul_i32 s0, s8, 0xfffffe48
	v_cvt_f32_f64_e32 v12, v[12:13]
	s_lshl_b64 s[6:7], s[0:1], 3
	v_cvt_f32_f64_e32 v13, v[10:11]
	v_add_co_u32 v14, s0, v24, s6
	v_cvt_f32_f64_e32 v5, v[5:6]
	v_add_co_ci_u32_e64 v15, s0, s7, v25, s0
	v_cvt_f32_f64_e32 v6, v[16:17]
	v_cvt_f32_f64_e32 v7, v[18:19]
	;; [unrolled: 1-line block ×4, first 2 shown]
	v_add_co_u32 v16, s0, v14, s4
	v_add_co_ci_u32_e64 v17, s0, s5, v15, s0
	v_add_co_u32 v18, s0, v16, s6
	v_add_co_ci_u32_e64 v19, s0, s7, v17, s0
	;; [unrolled: 2-line block ×3, first 2 shown]
	global_store_dwordx2 v[24:25], v[2:3], off
	global_store_dwordx2 v[14:15], v[12:13], off
	;; [unrolled: 1-line block ×5, first 2 shown]
	s_and_b32 exec_lo, exec_lo, vcc_lo
	s_cbranch_execz .LBB0_47
; %bb.46:
	s_clause 0x1
	global_load_dwordx2 v[2:3], v[52:53], off offset:128
	global_load_dwordx2 v[4:5], v[67:68], off offset:960
	ds_read_b64 v[6:7], v79 offset:4224
	ds_read_b64 v[8:9], v79 offset:9152
	v_add_co_u32 v0, vcc_lo, v0, s6
	v_add_co_ci_u32_e32 v1, vcc_lo, s7, v1, vcc_lo
	s_waitcnt vmcnt(1) lgkmcnt(1)
	v_mul_f32_e32 v10, v7, v3
	v_mul_f32_e32 v3, v6, v3
	s_waitcnt vmcnt(0) lgkmcnt(0)
	v_mul_f32_e32 v11, v9, v5
	v_mul_f32_e32 v5, v8, v5
	v_fmac_f32_e32 v10, v6, v2
	v_fma_f32 v6, v2, v7, -v3
	v_fmac_f32_e32 v11, v8, v4
	v_fma_f32 v8, v4, v9, -v5
	v_cvt_f64_f32_e32 v[2:3], v10
	v_cvt_f64_f32_e32 v[4:5], v6
	;; [unrolled: 1-line block ×4, first 2 shown]
	v_mul_f64 v[2:3], v[2:3], s[2:3]
	v_mul_f64 v[4:5], v[4:5], s[2:3]
	;; [unrolled: 1-line block ×4, first 2 shown]
	v_cvt_f32_f64_e32 v2, v[2:3]
	v_cvt_f32_f64_e32 v3, v[4:5]
	;; [unrolled: 1-line block ×4, first 2 shown]
	v_add_co_u32 v6, vcc_lo, v0, s4
	v_add_co_ci_u32_e32 v7, vcc_lo, s5, v1, vcc_lo
	global_store_dwordx2 v[0:1], v[2:3], off
	global_store_dwordx2 v[6:7], v[4:5], off
.LBB0_47:
	s_endpgm
	.section	.rodata,"a",@progbits
	.p2align	6, 0x0
	.amdhsa_kernel bluestein_single_back_len1232_dim1_sp_op_CI_CI
		.amdhsa_group_segment_fixed_size 9856
		.amdhsa_private_segment_fixed_size 0
		.amdhsa_kernarg_size 104
		.amdhsa_user_sgpr_count 6
		.amdhsa_user_sgpr_private_segment_buffer 1
		.amdhsa_user_sgpr_dispatch_ptr 0
		.amdhsa_user_sgpr_queue_ptr 0
		.amdhsa_user_sgpr_kernarg_segment_ptr 1
		.amdhsa_user_sgpr_dispatch_id 0
		.amdhsa_user_sgpr_flat_scratch_init 0
		.amdhsa_user_sgpr_private_segment_size 0
		.amdhsa_wavefront_size32 1
		.amdhsa_uses_dynamic_stack 0
		.amdhsa_system_sgpr_private_segment_wavefront_offset 0
		.amdhsa_system_sgpr_workgroup_id_x 1
		.amdhsa_system_sgpr_workgroup_id_y 0
		.amdhsa_system_sgpr_workgroup_id_z 0
		.amdhsa_system_sgpr_workgroup_info 0
		.amdhsa_system_vgpr_workitem_id 0
		.amdhsa_next_free_vgpr 198
		.amdhsa_next_free_sgpr 16
		.amdhsa_reserve_vcc 1
		.amdhsa_reserve_flat_scratch 0
		.amdhsa_float_round_mode_32 0
		.amdhsa_float_round_mode_16_64 0
		.amdhsa_float_denorm_mode_32 3
		.amdhsa_float_denorm_mode_16_64 3
		.amdhsa_dx10_clamp 1
		.amdhsa_ieee_mode 1
		.amdhsa_fp16_overflow 0
		.amdhsa_workgroup_processor_mode 1
		.amdhsa_memory_ordered 1
		.amdhsa_forward_progress 0
		.amdhsa_shared_vgpr_count 0
		.amdhsa_exception_fp_ieee_invalid_op 0
		.amdhsa_exception_fp_denorm_src 0
		.amdhsa_exception_fp_ieee_div_zero 0
		.amdhsa_exception_fp_ieee_overflow 0
		.amdhsa_exception_fp_ieee_underflow 0
		.amdhsa_exception_fp_ieee_inexact 0
		.amdhsa_exception_int_div_zero 0
	.end_amdhsa_kernel
	.text
.Lfunc_end0:
	.size	bluestein_single_back_len1232_dim1_sp_op_CI_CI, .Lfunc_end0-bluestein_single_back_len1232_dim1_sp_op_CI_CI
                                        ; -- End function
	.section	.AMDGPU.csdata,"",@progbits
; Kernel info:
; codeLenInByte = 11248
; NumSgprs: 18
; NumVgprs: 198
; ScratchSize: 0
; MemoryBound: 0
; FloatMode: 240
; IeeeMode: 1
; LDSByteSize: 9856 bytes/workgroup (compile time only)
; SGPRBlocks: 2
; VGPRBlocks: 24
; NumSGPRsForWavesPerEU: 18
; NumVGPRsForWavesPerEU: 198
; Occupancy: 4
; WaveLimiterHint : 1
; COMPUTE_PGM_RSRC2:SCRATCH_EN: 0
; COMPUTE_PGM_RSRC2:USER_SGPR: 6
; COMPUTE_PGM_RSRC2:TRAP_HANDLER: 0
; COMPUTE_PGM_RSRC2:TGID_X_EN: 1
; COMPUTE_PGM_RSRC2:TGID_Y_EN: 0
; COMPUTE_PGM_RSRC2:TGID_Z_EN: 0
; COMPUTE_PGM_RSRC2:TIDIG_COMP_CNT: 0
	.text
	.p2alignl 6, 3214868480
	.fill 48, 4, 3214868480
	.type	__hip_cuid_695da54551b72bd7,@object ; @__hip_cuid_695da54551b72bd7
	.section	.bss,"aw",@nobits
	.globl	__hip_cuid_695da54551b72bd7
__hip_cuid_695da54551b72bd7:
	.byte	0                               ; 0x0
	.size	__hip_cuid_695da54551b72bd7, 1

	.ident	"AMD clang version 19.0.0git (https://github.com/RadeonOpenCompute/llvm-project roc-6.4.0 25133 c7fe45cf4b819c5991fe208aaa96edf142730f1d)"
	.section	".note.GNU-stack","",@progbits
	.addrsig
	.addrsig_sym __hip_cuid_695da54551b72bd7
	.amdgpu_metadata
---
amdhsa.kernels:
  - .args:
      - .actual_access:  read_only
        .address_space:  global
        .offset:         0
        .size:           8
        .value_kind:     global_buffer
      - .actual_access:  read_only
        .address_space:  global
        .offset:         8
        .size:           8
        .value_kind:     global_buffer
      - .actual_access:  read_only
        .address_space:  global
        .offset:         16
        .size:           8
        .value_kind:     global_buffer
      - .actual_access:  read_only
        .address_space:  global
        .offset:         24
        .size:           8
        .value_kind:     global_buffer
      - .actual_access:  read_only
        .address_space:  global
        .offset:         32
        .size:           8
        .value_kind:     global_buffer
      - .offset:         40
        .size:           8
        .value_kind:     by_value
      - .address_space:  global
        .offset:         48
        .size:           8
        .value_kind:     global_buffer
      - .address_space:  global
        .offset:         56
        .size:           8
        .value_kind:     global_buffer
      - .address_space:  global
        .offset:         64
        .size:           8
        .value_kind:     global_buffer
      - .address_space:  global
        .offset:         72
        .size:           8
        .value_kind:     global_buffer
      - .offset:         80
        .size:           4
        .value_kind:     by_value
      - .address_space:  global
        .offset:         88
        .size:           8
        .value_kind:     global_buffer
      - .address_space:  global
        .offset:         96
        .size:           8
        .value_kind:     global_buffer
    .group_segment_fixed_size: 9856
    .kernarg_segment_align: 8
    .kernarg_segment_size: 104
    .language:       OpenCL C
    .language_version:
      - 2
      - 0
    .max_flat_workgroup_size: 176
    .name:           bluestein_single_back_len1232_dim1_sp_op_CI_CI
    .private_segment_fixed_size: 0
    .sgpr_count:     18
    .sgpr_spill_count: 0
    .symbol:         bluestein_single_back_len1232_dim1_sp_op_CI_CI.kd
    .uniform_work_group_size: 1
    .uses_dynamic_stack: false
    .vgpr_count:     198
    .vgpr_spill_count: 0
    .wavefront_size: 32
    .workgroup_processor_mode: 1
amdhsa.target:   amdgcn-amd-amdhsa--gfx1030
amdhsa.version:
  - 1
  - 2
...

	.end_amdgpu_metadata
